;; amdgpu-corpus repo=zjin-lcf/HeCBench kind=compiled arch=gfx950 opt=O3
	.amdgcn_target "amdgcn-amd-amdhsa--gfx950"
	.amdhsa_code_object_version 6
	.text
	.protected	_Z4rtm8PKfS0_S0_PfS1_S1_S0_m ; -- Begin function _Z4rtm8PKfS0_S0_PfS1_S1_S0_m
	.globl	_Z4rtm8PKfS0_S0_PfS1_S1_S0_m
	.p2align	8
	.type	_Z4rtm8PKfS0_S0_PfS1_S1_S0_m,@function
_Z4rtm8PKfS0_S0_PfS1_S1_S0_m:           ; @_Z4rtm8PKfS0_S0_PfS1_S1_S0_m
; %bb.0:
	s_load_dwordx2 s[6:7], s[0:1], 0x4c
	v_and_b32_e32 v1, 0x3ff, v0
	s_waitcnt lgkmcnt(0)
	s_and_b32 s5, s7, 0xffff
	s_lshr_b32 s7, s6, 16
	s_and_b32 s6, s6, 0xffff
	s_mul_i32 s2, s2, s6
	v_add_u32_e32 v15, s2, v1
	s_mul_i32 s3, s3, s7
	v_bfe_u32 v1, v0, 20, 10
	v_bfe_u32 v0, v0, 10, 10
	s_mul_i32 s4, s4, s5
	v_add_u32_e32 v0, s3, v0
	v_add_u32_e32 v17, -4, v15
	s_movk_i32 s2, 0x2a0
	v_add_u32_e32 v1, s4, v1
	v_cmp_gt_u32_e32 vcc, s2, v17
	v_add_u32_e32 v16, -4, v0
	s_movk_i32 s2, 0x7e
	v_cmp_gt_u32_e64 s[2:3], s2, v16
	v_add_u32_e32 v14, -4, v1
	s_movk_i32 s4, 0x1ba
	s_and_b64 s[2:3], vcc, s[2:3]
	v_cmp_gt_u32_e32 vcc, s4, v14
	s_and_b64 s[2:3], s[2:3], vcc
	s_and_saveexec_b64 s[4:5], s[2:3]
	s_cbranch_execz .LBB0_2
; %bb.1:
	s_movk_i32 s2, 0x2a8
	s_load_dwordx8 s[4:11], s[0:1], 0x0
	v_mul_lo_u32 v26, v0, s2
	s_mov_b32 s3, 0x163f0
	v_mov_b32_e32 v5, 0
	v_mul_lo_u32 v4, v1, s3
	v_add_u32_e32 v6, v15, v26
	v_mov_b32_e32 v7, v5
	v_lshl_add_u64 v[0:1], v[6:7], 0, v[4:5]
	v_add_u32_e32 v12, v6, v4
	v_lshlrev_b64 v[8:9], 2, v[0:1]
	v_add_u32_e32 v0, -1, v12
	v_mov_b32_e32 v1, v5
	v_lshlrev_b64 v[10:11], 2, v[0:1]
	v_add_u32_e32 v0, 0xfffffd58, v12
	s_waitcnt lgkmcnt(0)
	v_lshl_add_u64 v[18:19], s[6:7], 0, v[8:9]
	v_lshlrev_b64 v[22:23], 2, v[0:1]
	v_lshl_add_u64 v[20:21], s[6:7], 0, v[10:11]
	v_lshl_add_u64 v[24:25], s[6:7], 0, v[22:23]
	global_load_dwordx4 v[0:3], v[18:19], off offset:4
	global_load_dword v68, v[20:21], off
	global_load_dword v69, v[24:25], off
	global_load_dword v70, v[18:19], off offset:2720
	v_mov_b32_e32 v19, v5
	v_mov_b32_e32 v29, v5
	;; [unrolled: 1-line block ×3, first 2 shown]
	v_add_u32_e32 v18, -2, v12
	v_add_u32_e32 v28, 0x7f8, v12
	v_add_u32_e32 v32, 0xfffff808, v12
	v_mov_b32_e32 v21, v5
	v_mov_b32_e32 v25, v5
	;; [unrolled: 1-line block ×6, first 2 shown]
	v_mul_lo_u32 v7, v16, s2
	v_add_u32_e32 v71, v4, v26
	v_add_u32_e32 v20, 0x550, v12
	;; [unrolled: 1-line block ×3, first 2 shown]
	v_add_u32_e32 v26, -3, v12
	v_add_u32_e32 v34, 0x163f0, v12
	v_add_u32_e32 v36, 0xfffe9c10, v12
	v_lshlrev_b64 v[40:41], 2, v[18:19]
	v_lshlrev_b64 v[48:49], 2, v[28:29]
	;; [unrolled: 1-line block ×3, first 2 shown]
	s_load_dwordx4 s[12:15], s[0:1], 0x20
	s_load_dwordx2 s[16:17], s[0:1], 0x30
	v_add3_u32 v4, v4, v15, v7
	v_mad_u64_u32 v[30:31], s[0:1], v14, s3, v[6:7]
	v_lshlrev_b64 v[6:7], 2, v[12:13]
	v_lshlrev_b64 v[42:43], 2, v[20:21]
	;; [unrolled: 1-line block ×6, first 2 shown]
	v_lshl_add_u64 v[52:53], s[6:7], 0, v[40:41]
	v_lshl_add_u64 v[60:61], s[6:7], 0, v[48:49]
	;; [unrolled: 1-line block ×4, first 2 shown]
	v_mov_b32_e32 v39, v5
	v_lshl_add_u64 v[50:51], s[6:7], 0, v[6:7]
	v_lshl_add_u64 v[54:55], s[6:7], 0, v[42:43]
	;; [unrolled: 1-line block ×6, first 2 shown]
	global_load_dword v28, v[52:53], off
	global_load_dword v26, v[54:55], off
	;; [unrolled: 1-line block ×7, first 2 shown]
                                        ; kill: killed $vgpr62_vgpr63
                                        ; kill: killed $vgpr60_vgpr61
                                        ; kill: killed $vgpr58_vgpr59
                                        ; kill: killed $vgpr50_vgpr51
                                        ; kill: killed $vgpr56_vgpr57
                                        ; kill: killed $vgpr54_vgpr55
                                        ; kill: killed $vgpr52_vgpr53
	s_nop 0
	global_load_dword v60, v[64:65], off
	global_load_dword v61, v[66:67], off
	v_add_u32_e32 v38, 0x2c7e0, v12
	v_lshl_add_u64 v[34:35], s[8:9], 0, v[34:35]
	global_load_dword v62, v[22:23], off
	global_load_dword v63, v[34:35], off
	v_lshl_add_u64 v[22:23], s[8:9], 0, v[40:41]
	v_mov_b32_e32 v51, v5
	v_add_u32_e32 v50, 0xfffd3820, v12
	v_lshlrev_b64 v[38:39], 2, v[38:39]
	global_load_dword v29, v[22:23], off
	v_add_u32_e32 v22, 0x42bd0, v12
	v_mov_b32_e32 v23, v5
	v_lshlrev_b64 v[50:51], 2, v[50:51]
	v_lshl_add_u64 v[34:35], s[6:7], 0, v[38:39]
	v_lshlrev_b64 v[40:41], 2, v[22:23]
	v_lshl_add_u64 v[22:23], s[8:9], 0, v[42:43]
	v_lshl_add_u64 v[52:53], s[6:7], 0, v[50:51]
	global_load_dword v27, v[22:23], off
	v_lshl_add_u64 v[42:43], s[6:7], 0, v[40:41]
	global_load_dword v54, v[34:35], off
	global_load_dword v56, v[52:53], off
	;; [unrolled: 1-line block ×3, first 2 shown]
	v_lshl_add_u64 v[34:35], s[8:9], 0, v[44:45]
	global_load_dword v25, v[34:35], off
	v_lshlrev_b64 v[34:35], 2, v[4:5]
	v_add_u32_e32 v4, 0x58fc0, v12
	v_add_u32_e32 v12, 0xfffbd430, v12
	v_lshlrev_b64 v[42:43], 2, v[12:13]
	v_lshl_add_u64 v[12:13], s[8:9], 0, v[38:39]
	global_load_dword v55, v[12:13], off
	v_lshl_add_u64 v[12:13], s[8:9], 0, v[36:37]
	v_lshl_add_u64 v[36:37], s[8:9], 0, v[50:51]
	;; [unrolled: 1-line block ×3, first 2 shown]
	global_load_dword v65, v[12:13], off
	global_load_dword v57, v[36:37], off
	v_lshl_add_u64 v[36:37], s[8:9], 0, v[6:7]
	v_lshl_add_u64 v[44:45], s[8:9], 0, v[8:9]
	;; [unrolled: 1-line block ×3, first 2 shown]
	global_load_dword v21, v[46:47], off
	global_load_dword v8, v[36:37], off
	global_load_dword v66, v[50:51], off
	global_load_dwordx4 v[10:13], v[44:45], off offset:4
	global_load_dword v67, v[44:45], off offset:2720
	s_movk_i32 s0, 0xaa0
	v_add3_u32 v46, v15, v71, s0
	v_mov_b32_e32 v47, v5
	v_add_u32_e32 v36, v71, v17
	v_mov_b32_e32 v37, v5
	v_lshl_add_u64 v[44:45], s[8:9], 0, v[48:49]
	v_lshlrev_b64 v[46:47], 2, v[46:47]
	v_lshl_add_u64 v[32:33], s[8:9], 0, v[32:33]
	v_lshl_add_u64 v[40:41], s[8:9], 0, v[40:41]
	;; [unrolled: 1-line block ×3, first 2 shown]
	v_lshlrev_b64 v[36:37], 2, v[36:37]
	global_load_dword v19, v[44:45], off
	global_load_dword v17, v[32:33], off
	;; [unrolled: 1-line block ×3, first 2 shown]
	v_lshl_add_u64 v[32:33], s[6:7], 0, v[46:47]
	v_lshl_add_u64 v[44:45], s[6:7], 0, v[36:37]
	;; [unrolled: 1-line block ×3, first 2 shown]
	global_load_dword v48, v[38:39], off
	global_load_dword v50, v[44:45], off
	;; [unrolled: 1-line block ×4, first 2 shown]
	v_mov_b32_e32 v31, v5
	v_lshlrev_b64 v[4:5], 2, v[4:5]
	v_lshl_add_u64 v[32:33], s[8:9], 0, v[42:43]
	v_lshl_add_u64 v[36:37], s[8:9], 0, v[36:37]
	global_load_dword v49, v[32:33], off
	global_load_dword v51, v[36:37], off
	v_lshl_add_u64 v[32:33], s[6:7], 0, v[4:5]
	v_lshlrev_b64 v[30:31], 2, v[30:31]
	v_lshl_add_u64 v[36:37], s[6:7], 0, v[30:31]
	global_load_dword v38, v[32:33], off
	global_load_dword v40, v[36:37], off
	v_lshl_add_u64 v[32:33], s[8:9], 0, v[46:47]
	global_load_dword v53, v[32:33], off
	v_lshl_add_u64 v[34:35], s[8:9], 0, v[34:35]
	v_lshl_add_u64 v[32:33], s[10:11], 0, v[6:7]
	global_load_dword v59, v[34:35], off
	global_load_dword v36, v[32:33], off
	v_lshl_add_u64 v[4:5], s[8:9], 0, v[4:5]
	s_waitcnt vmcnt(41)
	v_add_f32_e32 v0, v0, v68
	v_lshl_add_u64 v[30:31], s[8:9], 0, v[30:31]
	global_load_dword v39, v[4:5], off
	global_load_dword v41, v[30:31], off
	s_waitcnt vmcnt(41)
	v_add_f32_e32 v0, v0, v70
	s_waitcnt lgkmcnt(0)
	v_lshl_add_u64 v[30:31], s[12:13], 0, v[6:7]
	v_add_f32_e32 v64, v0, v69
	v_lshl_add_u64 v[4:5], s[4:5], 0, v[6:7]
	global_load_dword v37, v[30:31], off
	global_load_dword v0, v[4:5], off
	s_load_dwordx4 s[0:3], s[16:17], 0x0
	s_load_dword s4, s[16:17], 0x10
	s_waitcnt vmcnt(35)
	v_add_f32_e32 v4, v64, v60
	s_waitcnt vmcnt(34)
	v_add_f32_e32 v9, v4, v61
	;; [unrolled: 2-line block ×3, first 2 shown]
	v_mov_b32_e32 v10, v1
	s_waitcnt vmcnt(18)
	v_add_f32_e32 v4, v4, v67
	v_pk_add_f32 v[10:11], v[10:11], v[28:29]
	v_add_f32_e32 v4, v4, v62
	v_pk_add_f32 v[10:11], v[10:11], v[26:27]
	;; [unrolled: 2-line block ×3, first 2 shown]
	v_add_f32_e32 v15, v4, v65
	s_waitcnt lgkmcnt(0)
	v_pk_mul_f32 v[4:5], s[0:1], v[8:9]
	v_pk_add_f32 v[10:11], v[10:11], v[54:55]
	v_pk_fma_f32 v[4:5], s[0:1], v[14:15], v[4:5] op_sel:[0,0,1] op_sel_hi:[1,1,0]
	v_pk_add_f32 v[10:11], v[10:11], v[56:57]
	s_mov_b32 s0, s3
	v_pk_fma_f32 v[4:5], s[2:3], v[10:11], v[4:5] op_sel_hi:[0,1,1]
	v_mov_b32_e32 v10, v2
	v_mov_b32_e32 v11, v12
	v_pk_add_f32 v[10:11], v[10:11], v[20:21]
	v_mov_b32_e32 v12, v3
	s_waitcnt vmcnt(17)
	v_pk_add_f32 v[10:11], v[10:11], v[18:19]
	v_mov_b32_e32 v15, v8
	s_waitcnt vmcnt(16)
	v_pk_add_f32 v[10:11], v[10:11], v[16:17]
	s_waitcnt vmcnt(9)
	v_pk_add_f32 v[2:3], v[12:13], v[50:51]
	v_pk_add_f32 v[10:11], v[10:11], v[22:23]
	s_waitcnt vmcnt(6)
	v_pk_add_f32 v[2:3], v[2:3], v[52:53]
	;; [unrolled: 3-line block ×3, first 2 shown]
	v_pk_fma_f32 v[4:5], s[0:1], v[10:11], v[4:5] op_sel_hi:[0,1,1]
	s_waitcnt vmcnt(3)
	v_pk_add_f32 v[2:3], v[2:3], v[38:39]
	s_waitcnt vmcnt(2)
	v_pk_add_f32 v[2:3], v[2:3], v[40:41]
	s_nop 0
	v_pk_fma_f32 v[2:3], s[4:5], v[2:3], v[4:5] op_sel_hi:[0,1,1]
	s_waitcnt vmcnt(1)
	v_pk_fma_f32 v[4:5], v[14:15], 2.0, v[36:37] op_sel_hi:[1,0,1] neg_lo:[0,0,1] neg_hi:[0,0,1]
	s_waitcnt vmcnt(0)
	v_pk_fma_f32 v[0:1], v[0:1], v[2:3], v[4:5] op_sel_hi:[0,1,1]
	global_store_dword v[32:33], v0, off
	global_store_dword v[30:31], v1, off
	v_mul_f32_e32 v2, v0, v1
	v_lshl_add_u64 v[0:1], s[14:15], 0, v[6:7]
	global_store_dword v[0:1], v2, off
.LBB0_2:
	s_endpgm
	.section	.rodata,"a",@progbits
	.p2align	6, 0x0
	.amdhsa_kernel _Z4rtm8PKfS0_S0_PfS1_S1_S0_m
		.amdhsa_group_segment_fixed_size 0
		.amdhsa_private_segment_fixed_size 0
		.amdhsa_kernarg_size 320
		.amdhsa_user_sgpr_count 2
		.amdhsa_user_sgpr_dispatch_ptr 0
		.amdhsa_user_sgpr_queue_ptr 0
		.amdhsa_user_sgpr_kernarg_segment_ptr 1
		.amdhsa_user_sgpr_dispatch_id 0
		.amdhsa_user_sgpr_kernarg_preload_length 0
		.amdhsa_user_sgpr_kernarg_preload_offset 0
		.amdhsa_user_sgpr_private_segment_size 0
		.amdhsa_uses_dynamic_stack 0
		.amdhsa_enable_private_segment 0
		.amdhsa_system_sgpr_workgroup_id_x 1
		.amdhsa_system_sgpr_workgroup_id_y 1
		.amdhsa_system_sgpr_workgroup_id_z 1
		.amdhsa_system_sgpr_workgroup_info 0
		.amdhsa_system_vgpr_workitem_id 2
		.amdhsa_next_free_vgpr 72
		.amdhsa_next_free_sgpr 18
		.amdhsa_accum_offset 72
		.amdhsa_reserve_vcc 1
		.amdhsa_float_round_mode_32 0
		.amdhsa_float_round_mode_16_64 0
		.amdhsa_float_denorm_mode_32 3
		.amdhsa_float_denorm_mode_16_64 3
		.amdhsa_dx10_clamp 1
		.amdhsa_ieee_mode 1
		.amdhsa_fp16_overflow 0
		.amdhsa_tg_split 0
		.amdhsa_exception_fp_ieee_invalid_op 0
		.amdhsa_exception_fp_denorm_src 0
		.amdhsa_exception_fp_ieee_div_zero 0
		.amdhsa_exception_fp_ieee_overflow 0
		.amdhsa_exception_fp_ieee_underflow 0
		.amdhsa_exception_fp_ieee_inexact 0
		.amdhsa_exception_int_div_zero 0
	.end_amdhsa_kernel
	.text
.Lfunc_end0:
	.size	_Z4rtm8PKfS0_S0_PfS1_S1_S0_m, .Lfunc_end0-_Z4rtm8PKfS0_S0_PfS1_S1_S0_m
                                        ; -- End function
	.set _Z4rtm8PKfS0_S0_PfS1_S1_S0_m.num_vgpr, 72
	.set _Z4rtm8PKfS0_S0_PfS1_S1_S0_m.num_agpr, 0
	.set _Z4rtm8PKfS0_S0_PfS1_S1_S0_m.numbered_sgpr, 18
	.set _Z4rtm8PKfS0_S0_PfS1_S1_S0_m.num_named_barrier, 0
	.set _Z4rtm8PKfS0_S0_PfS1_S1_S0_m.private_seg_size, 0
	.set _Z4rtm8PKfS0_S0_PfS1_S1_S0_m.uses_vcc, 1
	.set _Z4rtm8PKfS0_S0_PfS1_S1_S0_m.uses_flat_scratch, 0
	.set _Z4rtm8PKfS0_S0_PfS1_S1_S0_m.has_dyn_sized_stack, 0
	.set _Z4rtm8PKfS0_S0_PfS1_S1_S0_m.has_recursion, 0
	.set _Z4rtm8PKfS0_S0_PfS1_S1_S0_m.has_indirect_call, 0
	.section	.AMDGPU.csdata,"",@progbits
; Kernel info:
; codeLenInByte = 1708
; TotalNumSgprs: 24
; NumVgprs: 72
; NumAgprs: 0
; TotalNumVgprs: 72
; ScratchSize: 0
; MemoryBound: 0
; FloatMode: 240
; IeeeMode: 1
; LDSByteSize: 0 bytes/workgroup (compile time only)
; SGPRBlocks: 2
; VGPRBlocks: 8
; NumSGPRsForWavesPerEU: 24
; NumVGPRsForWavesPerEU: 72
; AccumOffset: 72
; Occupancy: 7
; WaveLimiterHint : 0
; COMPUTE_PGM_RSRC2:SCRATCH_EN: 0
; COMPUTE_PGM_RSRC2:USER_SGPR: 2
; COMPUTE_PGM_RSRC2:TRAP_HANDLER: 0
; COMPUTE_PGM_RSRC2:TGID_X_EN: 1
; COMPUTE_PGM_RSRC2:TGID_Y_EN: 1
; COMPUTE_PGM_RSRC2:TGID_Z_EN: 1
; COMPUTE_PGM_RSRC2:TIDIG_COMP_CNT: 2
; COMPUTE_PGM_RSRC3_GFX90A:ACCUM_OFFSET: 17
; COMPUTE_PGM_RSRC3_GFX90A:TG_SPLIT: 0
	.text
	.p2alignl 6, 3212836864
	.fill 256, 4, 3212836864
	.section	.AMDGPU.gpr_maximums,"",@progbits
	.set amdgpu.max_num_vgpr, 0
	.set amdgpu.max_num_agpr, 0
	.set amdgpu.max_num_sgpr, 0
	.text
	.type	__hip_cuid_7a36c0820bd28de4,@object ; @__hip_cuid_7a36c0820bd28de4
	.section	.bss,"aw",@nobits
	.globl	__hip_cuid_7a36c0820bd28de4
__hip_cuid_7a36c0820bd28de4:
	.byte	0                               ; 0x0
	.size	__hip_cuid_7a36c0820bd28de4, 1

	.ident	"AMD clang version 22.0.0git (https://github.com/RadeonOpenCompute/llvm-project roc-7.2.4 26084 f58b06dce1f9c15707c5f808fd002e18c2accf7e)"
	.section	".note.GNU-stack","",@progbits
	.addrsig
	.addrsig_sym __hip_cuid_7a36c0820bd28de4
	.amdgpu_metadata
---
amdhsa.kernels:
  - .agpr_count:     0
    .args:
      - .actual_access:  read_only
        .address_space:  global
        .offset:         0
        .size:           8
        .value_kind:     global_buffer
      - .actual_access:  read_only
        .address_space:  global
        .offset:         8
        .size:           8
        .value_kind:     global_buffer
      - .actual_access:  read_only
        .address_space:  global
        .offset:         16
        .size:           8
        .value_kind:     global_buffer
      - .address_space:  global
        .offset:         24
        .size:           8
        .value_kind:     global_buffer
      - .address_space:  global
        .offset:         32
        .size:           8
        .value_kind:     global_buffer
      - .actual_access:  write_only
        .address_space:  global
        .offset:         40
        .size:           8
        .value_kind:     global_buffer
      - .actual_access:  read_only
        .address_space:  global
        .offset:         48
        .size:           8
        .value_kind:     global_buffer
      - .offset:         56
        .size:           8
        .value_kind:     by_value
      - .offset:         64
        .size:           4
        .value_kind:     hidden_block_count_x
      - .offset:         68
        .size:           4
        .value_kind:     hidden_block_count_y
      - .offset:         72
        .size:           4
        .value_kind:     hidden_block_count_z
      - .offset:         76
        .size:           2
        .value_kind:     hidden_group_size_x
      - .offset:         78
        .size:           2
        .value_kind:     hidden_group_size_y
      - .offset:         80
        .size:           2
        .value_kind:     hidden_group_size_z
      - .offset:         82
        .size:           2
        .value_kind:     hidden_remainder_x
      - .offset:         84
        .size:           2
        .value_kind:     hidden_remainder_y
      - .offset:         86
        .size:           2
        .value_kind:     hidden_remainder_z
      - .offset:         104
        .size:           8
        .value_kind:     hidden_global_offset_x
      - .offset:         112
        .size:           8
        .value_kind:     hidden_global_offset_y
      - .offset:         120
        .size:           8
        .value_kind:     hidden_global_offset_z
      - .offset:         128
        .size:           2
        .value_kind:     hidden_grid_dims
    .group_segment_fixed_size: 0
    .kernarg_segment_align: 8
    .kernarg_segment_size: 320
    .language:       OpenCL C
    .language_version:
      - 2
      - 0
    .max_flat_workgroup_size: 1024
    .name:           _Z4rtm8PKfS0_S0_PfS1_S1_S0_m
    .private_segment_fixed_size: 0
    .sgpr_count:     24
    .sgpr_spill_count: 0
    .symbol:         _Z4rtm8PKfS0_S0_PfS1_S1_S0_m.kd
    .uniform_work_group_size: 1
    .uses_dynamic_stack: false
    .vgpr_count:     72
    .vgpr_spill_count: 0
    .wavefront_size: 64
amdhsa.target:   amdgcn-amd-amdhsa--gfx950
amdhsa.version:
  - 1
  - 2
...

	.end_amdgpu_metadata
